;; amdgpu-corpus repo=ROCm/rocFFT kind=compiled arch=gfx950 opt=O3
	.text
	.amdgcn_target "amdgcn-amd-amdhsa--gfx950"
	.amdhsa_code_object_version 6
	.protected	bluestein_single_fwd_len512_dim1_dp_op_CI_CI ; -- Begin function bluestein_single_fwd_len512_dim1_dp_op_CI_CI
	.globl	bluestein_single_fwd_len512_dim1_dp_op_CI_CI
	.p2align	8
	.type	bluestein_single_fwd_len512_dim1_dp_op_CI_CI,@function
bluestein_single_fwd_len512_dim1_dp_op_CI_CI: ; @bluestein_single_fwd_len512_dim1_dp_op_CI_CI
; %bb.0:
	s_load_dwordx4 s[16:19], s[0:1], 0x28
	s_mov_b32 s3, 0
	s_waitcnt lgkmcnt(0)
	v_mov_b32_e32 v2, s16
	v_mov_b32_e32 v3, s17
	v_cmp_lt_u64_e32 vcc, s[2:3], v[2:3]
	s_and_saveexec_b64 s[4:5], vcc
	s_cbranch_execz .LBB0_2
; %bb.1:
	s_load_dwordx4 s[4:7], s[0:1], 0x18
	s_load_dwordx4 s[8:11], s[0:1], 0x0
	v_mov_b64_e32 v[94:95], s[2:3]
	v_mov_b32_e32 v2, s18
	v_mov_b32_e32 v3, s19
	s_waitcnt lgkmcnt(0)
	s_load_dwordx4 s[12:15], s[4:5], 0x0
	s_add_u32 s16, s8, 0x2000
	s_addc_u32 s17, s9, 0
	v_lshlrev_b32_e32 v1, 4, v0
	v_or_b32_e32 v96, 0x1000, v1
	s_waitcnt lgkmcnt(0)
	v_mad_u64_u32 v[4:5], s[2:3], s14, v94, 0
	v_mov_b32_e32 v6, v5
	v_mad_u64_u32 v[6:7], s[2:3], s15, v94, v[6:7]
	v_mov_b32_e32 v5, v6
	v_mad_u64_u32 v[6:7], s[2:3], s12, v0, 0
	v_mov_b32_e32 v8, v7
	v_mad_u64_u32 v[8:9], s[2:3], s13, v0, v[8:9]
	v_mov_b32_e32 v7, v8
	v_lshl_add_u64 v[2:3], v[4:5], 4, v[2:3]
	v_lshl_add_u64 v[2:3], v[6:7], 4, v[2:3]
	s_lshl_b64 s[2:3], s[12:13], 10
	global_load_dwordx4 v[34:37], v[2:3], off
	global_load_dwordx4 v[6:9], v1, s[8:9]
	v_lshl_add_u64 v[2:3], v[2:3], 0, s[2:3]
	global_load_dwordx4 v[18:21], v1, s[8:9] offset:1024
	global_load_dwordx4 v[38:41], v[2:3], off
	v_lshl_add_u64 v[10:11], v[2:3], 0, s[2:3]
	global_load_dwordx4 v[42:45], v[10:11], off
	global_load_dwordx4 v[2:5], v1, s[8:9] offset:2048
	v_lshl_add_u64 v[10:11], v[10:11], 0, s[2:3]
	global_load_dwordx4 v[26:29], v1, s[8:9] offset:3072
	global_load_dwordx4 v[46:49], v[10:11], off
	v_lshl_add_u64 v[14:15], v[10:11], 0, s[2:3]
	global_load_dwordx4 v[50:53], v[14:15], off
	v_lshl_add_u64 v[14:15], v[14:15], 0, s[2:3]
	v_or_b32_e32 v97, 0x1400, v1
	global_load_dwordx4 v[10:13], v96, s[8:9]
	global_load_dwordx4 v[22:25], v97, s[8:9]
	global_load_dwordx4 v[54:57], v[14:15], off
	v_lshl_add_u64 v[62:63], v[14:15], 0, s[2:3]
	v_or_b32_e32 v100, 0x1800, v1
	global_load_dwordx4 v[14:17], v100, s[8:9]
	global_load_dwordx4 v[58:61], v[62:63], off
	v_or_b32_e32 v98, 0x1c00, v1
	v_lshl_add_u64 v[62:63], v[62:63], 0, s[2:3]
	global_load_dwordx4 v[30:33], v98, s[8:9]
	s_load_dwordx4 s[4:7], s[6:7], 0x0
	global_load_dwordx4 v[62:65], v[62:63], off
	s_mov_b32 s2, 0x667f3bcd
	s_mov_b32 s3, 0xbfe6a09e
	;; [unrolled: 1-line block ×4, first 2 shown]
	v_lshlrev_b32_e32 v95, 7, v0
	s_movk_i32 s12, 0x70
	s_load_dwordx2 s[0:1], s[0:1], 0x38
	s_waitcnt vmcnt(14)
	v_mul_f64 v[66:67], v[36:37], v[8:9]
	v_mul_f64 v[68:69], v[34:35], v[8:9]
	v_fmac_f64_e32 v[66:67], v[34:35], v[6:7]
	v_fma_f64 v[68:69], v[36:37], v[6:7], -v[68:69]
	s_waitcnt vmcnt(12)
	v_mul_f64 v[34:35], v[40:41], v[20:21]
	v_mul_f64 v[36:37], v[38:39], v[20:21]
	v_fmac_f64_e32 v[34:35], v[38:39], v[18:19]
	v_fma_f64 v[36:37], v[40:41], v[18:19], -v[36:37]
	s_waitcnt vmcnt(10)
	v_mul_f64 v[38:39], v[44:45], v[4:5]
	v_mul_f64 v[40:41], v[42:43], v[4:5]
	ds_write_b128 v1, v[34:37] offset:1024
	s_waitcnt vmcnt(8)
	v_mul_f64 v[34:35], v[48:49], v[28:29]
	v_mul_f64 v[36:37], v[46:47], v[28:29]
	v_fmac_f64_e32 v[38:39], v[42:43], v[2:3]
	v_fma_f64 v[40:41], v[44:45], v[2:3], -v[40:41]
	v_fmac_f64_e32 v[34:35], v[46:47], v[26:27]
	v_fma_f64 v[36:37], v[48:49], v[26:27], -v[36:37]
	ds_write_b128 v1, v[38:41] offset:2048
	s_waitcnt vmcnt(6)
	v_mul_f64 v[38:39], v[52:53], v[12:13]
	v_mul_f64 v[40:41], v[50:51], v[12:13]
	ds_write_b128 v1, v[34:37] offset:3072
	s_waitcnt vmcnt(4)
	v_mul_f64 v[34:35], v[56:57], v[24:25]
	v_mul_f64 v[36:37], v[54:55], v[24:25]
	v_fmac_f64_e32 v[38:39], v[50:51], v[10:11]
	v_fma_f64 v[40:41], v[52:53], v[10:11], -v[40:41]
	v_fmac_f64_e32 v[34:35], v[54:55], v[22:23]
	v_fma_f64 v[36:37], v[56:57], v[22:23], -v[36:37]
	ds_write_b128 v1, v[38:41] offset:4096
	s_waitcnt vmcnt(2)
	v_mul_f64 v[38:39], v[60:61], v[16:17]
	v_mul_f64 v[40:41], v[58:59], v[16:17]
	ds_write_b128 v1, v[34:37] offset:5120
	s_waitcnt vmcnt(0)
	v_mul_f64 v[34:35], v[64:65], v[32:33]
	v_mul_f64 v[36:37], v[62:63], v[32:33]
	v_fmac_f64_e32 v[38:39], v[58:59], v[14:15]
	v_fma_f64 v[40:41], v[60:61], v[14:15], -v[40:41]
	v_fmac_f64_e32 v[34:35], v[62:63], v[30:31]
	v_fma_f64 v[36:37], v[64:65], v[30:31], -v[36:37]
	ds_write_b128 v1, v[66:69]
	ds_write_b128 v1, v[38:41] offset:6144
	ds_write_b128 v1, v[34:37] offset:7168
	s_waitcnt lgkmcnt(0)
	; wave barrier
	s_waitcnt lgkmcnt(0)
	ds_read_b128 v[34:37], v1
	ds_read_b128 v[38:41], v1 offset:1024
	ds_read_b128 v[42:45], v1 offset:4096
	;; [unrolled: 1-line block ×7, first 2 shown]
	s_waitcnt lgkmcnt(5)
	v_add_f64 v[42:43], v[34:35], -v[42:43]
	v_add_f64 v[44:45], v[36:37], -v[44:45]
	s_waitcnt lgkmcnt(2)
	v_add_f64 v[56:57], v[48:49], -v[56:57]
	s_waitcnt lgkmcnt(1)
	v_add_f64 v[58:59], v[38:39], -v[58:59]
	v_add_f64 v[60:61], v[40:41], -v[60:61]
	s_waitcnt lgkmcnt(0)
	v_add_f64 v[62:63], v[50:51], -v[62:63]
	v_add_f64 v[64:65], v[52:53], -v[64:65]
	;; [unrolled: 1-line block ×3, first 2 shown]
	v_fma_f64 v[38:39], v[38:39], 2.0, -v[58:59]
	v_fma_f64 v[40:41], v[40:41], 2.0, -v[60:61]
	;; [unrolled: 1-line block ×4, first 2 shown]
	v_add_f64 v[70:71], v[42:43], -v[56:57]
	v_add_f64 v[64:65], v[58:59], -v[64:65]
	v_fma_f64 v[34:35], v[34:35], 2.0, -v[42:43]
	v_fma_f64 v[36:37], v[36:37], 2.0, -v[44:45]
	;; [unrolled: 1-line block ×4, first 2 shown]
	v_add_f64 v[72:73], v[44:45], v[54:55]
	v_fma_f64 v[54:55], v[42:43], 2.0, -v[70:71]
	v_add_f64 v[74:75], v[38:39], -v[50:51]
	v_add_f64 v[50:51], v[40:41], -v[52:53]
	v_add_f64 v[62:63], v[60:61], v[62:63]
	v_fma_f64 v[52:53], v[58:59], 2.0, -v[64:65]
	v_add_f64 v[66:67], v[34:35], -v[46:47]
	v_add_f64 v[68:69], v[36:37], -v[48:49]
	v_fma_f64 v[56:57], v[44:45], 2.0, -v[72:73]
	v_fma_f64 v[58:59], v[60:61], 2.0, -v[62:63]
	v_fma_f64 v[42:43], s[2:3], v[52:53], v[54:55]
	v_fma_f64 v[46:47], v[34:35], 2.0, -v[66:67]
	v_fma_f64 v[48:49], v[36:37], 2.0, -v[68:69]
	;; [unrolled: 1-line block ×4, first 2 shown]
	v_fma_f64 v[44:45], s[2:3], v[58:59], v[56:57]
	v_fmac_f64_e32 v[42:43], s[2:3], v[58:59]
	v_fma_f64 v[58:59], s[8:9], v[64:65], v[70:71]
	v_add_f64 v[34:35], v[46:47], -v[34:35]
	v_add_f64 v[36:37], v[48:49], -v[36:37]
	v_fma_f64 v[60:61], s[8:9], v[62:63], v[72:73]
	v_fmac_f64_e32 v[58:59], s[2:3], v[62:63]
	v_fma_f64 v[38:39], v[46:47], 2.0, -v[34:35]
	v_fma_f64 v[40:41], v[48:49], 2.0, -v[36:37]
	v_fmac_f64_e32 v[44:45], s[8:9], v[52:53]
	v_add_f64 v[50:51], v[66:67], -v[50:51]
	v_add_f64 v[52:53], v[68:69], v[74:75]
	v_fmac_f64_e32 v[60:61], s[8:9], v[64:65]
	v_fma_f64 v[62:63], v[70:71], 2.0, -v[58:59]
	v_fma_f64 v[46:47], v[54:55], 2.0, -v[42:43]
	;; [unrolled: 1-line block ×6, first 2 shown]
	s_waitcnt lgkmcnt(0)
	; wave barrier
	ds_write_b128 v95, v[38:41]
	ds_write_b128 v95, v[46:49] offset:16
	ds_write_b128 v95, v[54:57] offset:32
	;; [unrolled: 1-line block ×7, first 2 shown]
	v_and_b32_e32 v34, 7, v0
	v_mov_b64_e32 v[62:63], s[10:11]
	v_mad_u64_u32 v[64:65], s[10:11], v34, s12, v[62:63]
	s_waitcnt lgkmcnt(0)
	; wave barrier
	s_waitcnt lgkmcnt(0)
	global_load_dwordx4 v[46:49], v[64:65], off
	global_load_dwordx4 v[42:45], v[64:65], off offset:16
	global_load_dwordx4 v[38:41], v[64:65], off offset:32
	;; [unrolled: 1-line block ×6, first 2 shown]
	ds_read_b128 v[64:67], v1 offset:1024
	ds_read_b128 v[68:71], v1 offset:2048
	;; [unrolled: 1-line block ×5, first 2 shown]
	ds_read_b128 v[84:87], v1
	s_movk_i32 s10, 0x1c7
	s_waitcnt vmcnt(6) lgkmcnt(5)
	v_mul_f64 v[88:89], v[66:67], v[48:49]
	v_mul_f64 v[90:91], v[64:65], v[48:49]
	s_waitcnt vmcnt(4) lgkmcnt(3)
	v_mul_f64 v[106:107], v[72:73], v[40:41]
	v_fma_f64 v[88:89], v[64:65], v[46:47], -v[88:89]
	s_waitcnt vmcnt(3) lgkmcnt(2)
	v_mul_f64 v[64:65], v[78:79], v[36:37]
	v_mul_f64 v[92:93], v[70:71], v[44:45]
	;; [unrolled: 1-line block ×3, first 2 shown]
	v_fmac_f64_e32 v[90:91], v[66:67], v[46:47]
	v_fmac_f64_e32 v[106:107], v[74:75], v[38:39]
	v_fma_f64 v[74:75], v[76:77], v[34:35], -v[64:65]
	ds_read_b128 v[64:67], v1 offset:6144
	v_mul_f64 v[102:103], v[68:69], v[44:45]
	v_fma_f64 v[92:93], v[68:69], v[42:43], -v[92:93]
	v_mul_f64 v[76:77], v[76:77], v[36:37]
	s_waitcnt vmcnt(2) lgkmcnt(2)
	v_mul_f64 v[68:69], v[82:83], v[52:53]
	v_fmac_f64_e32 v[102:103], v[70:71], v[42:43]
	v_fmac_f64_e32 v[76:77], v[78:79], v[34:35]
	v_fma_f64 v[78:79], v[80:81], v[50:51], -v[68:69]
	ds_read_b128 v[68:71], v1 offset:7168
	v_mul_f64 v[80:81], v[80:81], v[52:53]
	v_fmac_f64_e32 v[80:81], v[82:83], v[50:51]
	s_waitcnt vmcnt(1) lgkmcnt(1)
	v_mul_f64 v[82:83], v[66:67], v[56:57]
	v_fma_f64 v[82:83], v[64:65], v[54:55], -v[82:83]
	v_mul_f64 v[64:65], v[64:65], v[56:57]
	v_fmac_f64_e32 v[64:65], v[66:67], v[54:55]
	s_waitcnt vmcnt(0) lgkmcnt(0)
	v_mul_f64 v[66:67], v[70:71], v[60:61]
	v_fma_f64 v[66:67], v[68:69], v[58:59], -v[66:67]
	v_mul_f64 v[68:69], v[68:69], v[60:61]
	v_add_f64 v[74:75], v[84:85], -v[74:75]
	v_add_f64 v[76:77], v[86:87], -v[76:77]
	v_fma_f64 v[72:73], v[72:73], v[38:39], -v[104:105]
	v_fmac_f64_e32 v[68:69], v[70:71], v[58:59]
	v_fma_f64 v[70:71], v[84:85], 2.0, -v[74:75]
	v_fma_f64 v[84:85], v[86:87], 2.0, -v[76:77]
	v_add_f64 v[82:83], v[92:93], -v[82:83]
	v_add_f64 v[86:87], v[102:103], -v[64:65]
	v_fma_f64 v[64:65], v[92:93], 2.0, -v[82:83]
	v_fma_f64 v[92:93], v[102:103], 2.0, -v[86:87]
	v_add_f64 v[78:79], v[88:89], -v[78:79]
	v_add_f64 v[80:81], v[90:91], -v[80:81]
	;; [unrolled: 1-line block ×4, first 2 shown]
	v_fma_f64 v[88:89], v[88:89], 2.0, -v[78:79]
	v_fma_f64 v[90:91], v[90:91], 2.0, -v[80:81]
	;; [unrolled: 1-line block ×4, first 2 shown]
	v_add_f64 v[92:93], v[84:85], -v[92:93]
	v_add_f64 v[106:107], v[70:71], -v[64:65]
	v_fma_f64 v[72:73], v[84:85], 2.0, -v[92:93]
	v_add_f64 v[84:85], v[88:89], -v[66:67]
	v_add_f64 v[108:109], v[90:91], -v[68:69]
	v_fma_f64 v[70:71], v[70:71], 2.0, -v[106:107]
	v_fma_f64 v[64:65], v[88:89], 2.0, -v[84:85]
	;; [unrolled: 1-line block ×3, first 2 shown]
	v_add_f64 v[64:65], v[70:71], -v[64:65]
	v_add_f64 v[66:67], v[72:73], -v[66:67]
	v_fma_f64 v[68:69], v[70:71], 2.0, -v[64:65]
	v_fma_f64 v[70:71], v[72:73], 2.0, -v[66:67]
	v_lshlrev_b32_e32 v72, 3, v0
	v_bitop3_b32 v72, v72, s10, v0 bitop3:0xc8
	v_add_f64 v[86:87], v[74:75], -v[86:87]
	v_add_f64 v[82:83], v[76:77], v[82:83]
	v_add_f64 v[88:89], v[78:79], -v[104:105]
	v_add_f64 v[90:91], v[80:81], v[102:103]
	v_lshlrev_b32_e32 v99, 4, v72
	v_fma_f64 v[72:73], v[74:75], 2.0, -v[86:87]
	v_fma_f64 v[74:75], v[76:77], 2.0, -v[82:83]
	;; [unrolled: 1-line block ×4, first 2 shown]
	s_waitcnt lgkmcnt(0)
	; wave barrier
	ds_write_b128 v99, v[68:71]
	v_fma_f64 v[68:69], s[2:3], v[76:77], v[72:73]
	v_fma_f64 v[70:71], s[2:3], v[78:79], v[74:75]
	v_fmac_f64_e32 v[68:69], s[2:3], v[78:79]
	v_fmac_f64_e32 v[70:71], s[8:9], v[76:77]
	v_fma_f64 v[72:73], v[72:73], 2.0, -v[68:69]
	v_fma_f64 v[74:75], v[74:75], 2.0, -v[70:71]
	ds_write_b128 v99, v[72:75] offset:128
	v_add_f64 v[72:73], v[106:107], -v[108:109]
	v_add_f64 v[74:75], v[92:93], v[84:85]
	v_fma_f64 v[76:77], v[106:107], 2.0, -v[72:73]
	v_fma_f64 v[78:79], v[92:93], 2.0, -v[74:75]
	ds_write_b128 v99, v[76:79] offset:256
	v_fma_f64 v[76:77], s[8:9], v[88:89], v[86:87]
	v_fma_f64 v[78:79], s[8:9], v[90:91], v[82:83]
	v_fmac_f64_e32 v[76:77], s[2:3], v[90:91]
	v_fmac_f64_e32 v[78:79], s[8:9], v[88:89]
	v_fma_f64 v[80:81], v[86:87], 2.0, -v[76:77]
	v_fma_f64 v[82:83], v[82:83], 2.0, -v[78:79]
	v_mad_u64_u32 v[90:91], s[10:11], v0, s12, v[62:63]
	ds_write_b128 v99, v[80:83] offset:384
	ds_write_b128 v99, v[64:67] offset:512
	;; [unrolled: 1-line block ×5, first 2 shown]
	s_waitcnt lgkmcnt(0)
	; wave barrier
	s_waitcnt lgkmcnt(0)
	global_load_dwordx4 v[66:69], v[90:91], off offset:896
	global_load_dwordx4 v[62:65], v[90:91], off offset:912
	;; [unrolled: 1-line block ×7, first 2 shown]
	ds_read_b128 v[90:93], v1 offset:1024
	ds_read_b128 v[102:105], v1
	ds_read_b128 v[106:109], v1 offset:2048
	s_waitcnt vmcnt(6) lgkmcnt(2)
	v_mul_f64 v[110:111], v[92:93], v[68:69]
	v_mul_f64 v[112:113], v[90:91], v[68:69]
	v_fma_f64 v[110:111], v[90:91], v[66:67], -v[110:111]
	v_fmac_f64_e32 v[112:113], v[92:93], v[66:67]
	ds_read_b128 v[90:93], v1 offset:3072
	s_waitcnt vmcnt(5) lgkmcnt(1)
	v_mul_f64 v[114:115], v[108:109], v[64:65]
	v_mul_f64 v[116:117], v[106:107], v[64:65]
	v_fma_f64 v[114:115], v[106:107], v[62:63], -v[114:115]
	v_fmac_f64_e32 v[116:117], v[108:109], v[62:63]
	;; [unrolled: 6-line block ×5, first 2 shown]
	ds_read_b128 v[90:93], v1 offset:7168
	s_waitcnt vmcnt(1) lgkmcnt(1)
	v_mul_f64 v[130:131], v[108:109], v[84:85]
	v_fma_f64 v[130:131], v[106:107], v[82:83], -v[130:131]
	v_mul_f64 v[106:107], v[106:107], v[84:85]
	v_fmac_f64_e32 v[106:107], v[108:109], v[82:83]
	s_waitcnt vmcnt(0) lgkmcnt(0)
	v_mul_f64 v[108:109], v[92:93], v[88:89]
	v_fma_f64 v[108:109], v[90:91], v[86:87], -v[108:109]
	v_mul_f64 v[90:91], v[90:91], v[88:89]
	v_fmac_f64_e32 v[90:91], v[92:93], v[86:87]
	v_add_f64 v[122:123], v[102:103], -v[122:123]
	v_add_f64 v[124:125], v[104:105], -v[124:125]
	v_add_f64 v[130:131], v[114:115], -v[130:131]
	v_add_f64 v[106:107], v[116:117], -v[106:107]
	v_fma_f64 v[92:93], v[102:103], 2.0, -v[122:123]
	v_fma_f64 v[102:103], v[104:105], 2.0, -v[124:125]
	v_fma_f64 v[104:105], v[114:115], 2.0, -v[130:131]
	v_fma_f64 v[114:115], v[116:117], 2.0, -v[106:107]
	v_add_f64 v[116:117], v[110:111], -v[126:127]
	v_add_f64 v[126:127], v[112:113], -v[128:129]
	v_add_f64 v[108:109], v[118:119], -v[108:109]
	v_add_f64 v[128:129], v[120:121], -v[90:91]
	v_fma_f64 v[110:111], v[110:111], 2.0, -v[116:117]
	v_fma_f64 v[112:113], v[112:113], 2.0, -v[126:127]
	v_fma_f64 v[90:91], v[118:119], 2.0, -v[108:109]
	v_fma_f64 v[118:119], v[120:121], 2.0, -v[128:129]
	;; [unrolled: 8-line block ×3, first 2 shown]
	v_add_f64 v[90:91], v[104:105], -v[90:91]
	v_add_f64 v[92:93], v[132:133], -v[92:93]
	v_fma_f64 v[102:103], v[104:105], 2.0, -v[90:91]
	v_fma_f64 v[104:105], v[132:133], 2.0, -v[92:93]
	v_add_f64 v[132:133], v[122:123], -v[106:107]
	v_add_f64 v[130:131], v[124:125], v[130:131]
	v_fma_f64 v[106:107], v[122:123], 2.0, -v[132:133]
	v_fma_f64 v[110:111], v[124:125], 2.0, -v[130:131]
	v_add_f64 v[122:123], v[116:117], -v[128:129]
	v_add_f64 v[124:125], v[126:127], v[108:109]
	v_fma_f64 v[108:109], v[116:117], 2.0, -v[122:123]
	v_fma_f64 v[112:113], v[126:127], 2.0, -v[124:125]
	ds_write_b128 v1, v[102:105]
	v_fma_f64 v[102:103], s[2:3], v[108:109], v[106:107]
	v_fma_f64 v[104:105], s[2:3], v[112:113], v[110:111]
	v_fmac_f64_e32 v[102:103], s[2:3], v[112:113]
	v_fmac_f64_e32 v[104:105], s[8:9], v[108:109]
	v_fma_f64 v[106:107], v[106:107], 2.0, -v[102:103]
	v_fma_f64 v[108:109], v[110:111], 2.0, -v[104:105]
	ds_write_b128 v1, v[106:109] offset:1024
	v_add_f64 v[106:107], v[120:121], -v[118:119]
	v_add_f64 v[108:109], v[114:115], v[134:135]
	v_fma_f64 v[110:111], v[120:121], 2.0, -v[106:107]
	v_fma_f64 v[112:113], v[114:115], 2.0, -v[108:109]
	ds_write_b128 v1, v[110:113] offset:2048
	v_fma_f64 v[110:111], s[8:9], v[122:123], v[132:133]
	v_fma_f64 v[112:113], s[8:9], v[124:125], v[130:131]
	v_fmac_f64_e32 v[110:111], s[2:3], v[124:125]
	v_fmac_f64_e32 v[112:113], s[8:9], v[122:123]
	v_fma_f64 v[114:115], v[132:133], 2.0, -v[110:111]
	v_fma_f64 v[116:117], v[130:131], 2.0, -v[112:113]
	ds_write_b128 v1, v[114:117] offset:3072
	ds_write_b128 v1, v[90:93] offset:4096
	;; [unrolled: 1-line block ×5, first 2 shown]
	s_waitcnt lgkmcnt(0)
	; wave barrier
	s_waitcnt lgkmcnt(0)
	global_load_dwordx4 v[90:93], v1, s[16:17]
	global_load_dwordx4 v[102:105], v1, s[16:17] offset:1024
	global_load_dwordx4 v[106:109], v1, s[16:17] offset:2048
	;; [unrolled: 1-line block ×3, first 2 shown]
	global_load_dwordx4 v[114:117], v96, s[16:17]
	global_load_dwordx4 v[118:121], v97, s[16:17]
	;; [unrolled: 1-line block ×3, first 2 shown]
                                        ; kill: killed $vgpr96
                                        ; kill: killed $vgpr97
                                        ; kill: killed $vgpr100
	global_load_dwordx4 v[126:129], v98, s[16:17]
	ds_read_b128 v[130:133], v1
	ds_read_b128 v[134:137], v1 offset:1024
	s_waitcnt vmcnt(7) lgkmcnt(1)
	v_mul_f64 v[96:97], v[132:133], v[92:93]
	v_mul_f64 v[140:141], v[130:131], v[92:93]
	v_fma_f64 v[138:139], v[130:131], v[90:91], -v[96:97]
	v_fmac_f64_e32 v[140:141], v[132:133], v[90:91]
	s_waitcnt vmcnt(6) lgkmcnt(0)
	v_mul_f64 v[96:97], v[136:137], v[104:105]
	ds_read_b128 v[90:93], v1 offset:2048
	v_mul_f64 v[132:133], v[134:135], v[104:105]
	v_fma_f64 v[130:131], v[134:135], v[102:103], -v[96:97]
	v_fmac_f64_e32 v[132:133], v[136:137], v[102:103]
	ds_read_b128 v[100:103], v1 offset:3072
	s_waitcnt vmcnt(5) lgkmcnt(1)
	v_mul_f64 v[96:97], v[92:93], v[108:109]
	v_mul_f64 v[136:137], v[90:91], v[108:109]
	v_fma_f64 v[134:135], v[90:91], v[106:107], -v[96:97]
	v_fmac_f64_e32 v[136:137], v[92:93], v[106:107]
	s_waitcnt vmcnt(4) lgkmcnt(0)
	v_mul_f64 v[96:97], v[102:103], v[112:113]
	ds_read_b128 v[90:93], v1 offset:4096
	v_mul_f64 v[106:107], v[100:101], v[112:113]
	v_fma_f64 v[104:105], v[100:101], v[110:111], -v[96:97]
	v_fmac_f64_e32 v[106:107], v[102:103], v[110:111]
	;; [unrolled: 12-line block ×3, first 2 shown]
	ds_read_b128 v[100:103], v1 offset:7168
	s_waitcnt vmcnt(1) lgkmcnt(1)
	v_mul_f64 v[96:97], v[92:93], v[124:125]
	v_mul_f64 v[118:119], v[90:91], v[124:125]
	v_fma_f64 v[116:117], v[90:91], v[122:123], -v[96:97]
	v_fmac_f64_e32 v[118:119], v[92:93], v[122:123]
	s_waitcnt vmcnt(0) lgkmcnt(0)
	v_mul_f64 v[90:91], v[102:103], v[128:129]
	v_mul_f64 v[92:93], v[100:101], v[128:129]
	v_fma_f64 v[90:91], v[100:101], v[126:127], -v[90:91]
	v_fmac_f64_e32 v[92:93], v[102:103], v[126:127]
	ds_write_b128 v1, v[138:141]
	ds_write_b128 v1, v[130:133] offset:1024
	ds_write_b128 v1, v[134:137] offset:2048
	ds_write_b128 v1, v[104:107] offset:3072
	ds_write_b128 v1, v[108:111] offset:4096
	ds_write_b128 v1, v[112:115] offset:5120
	ds_write_b128 v1, v[116:119] offset:6144
	ds_write_b128 v1, v[90:93] offset:7168
	s_waitcnt lgkmcnt(0)
	; wave barrier
	s_waitcnt lgkmcnt(0)
	ds_read_b128 v[90:93], v1 offset:4096
	ds_read_b128 v[100:103], v1
	ds_read_b128 v[104:107], v1 offset:1024
	ds_read_b128 v[108:111], v1 offset:6144
	;; [unrolled: 1-line block ×3, first 2 shown]
	s_waitcnt lgkmcnt(3)
	v_add_f64 v[96:97], v[100:101], -v[90:91]
	v_add_f64 v[120:121], v[102:103], -v[92:93]
	ds_read_b128 v[90:93], v1 offset:2048
	v_fma_f64 v[122:123], v[100:101], 2.0, -v[96:97]
	v_fma_f64 v[124:125], v[102:103], 2.0, -v[120:121]
	ds_read_b128 v[100:103], v1 offset:3072
	ds_read_b128 v[116:119], v1 offset:7168
	s_waitcnt lgkmcnt(3)
	v_add_f64 v[112:113], v[104:105], -v[112:113]
	s_waitcnt lgkmcnt(2)
	v_add_f64 v[108:109], v[90:91], -v[108:109]
	v_add_f64 v[110:111], v[92:93], -v[110:111]
	;; [unrolled: 1-line block ×3, first 2 shown]
	s_waitcnt lgkmcnt(0)
	v_add_f64 v[116:117], v[100:101], -v[116:117]
	v_add_f64 v[118:119], v[102:103], -v[118:119]
	v_fma_f64 v[90:91], v[90:91], 2.0, -v[108:109]
	v_fma_f64 v[92:93], v[92:93], 2.0, -v[110:111]
	;; [unrolled: 1-line block ×6, first 2 shown]
	v_add_f64 v[126:127], v[122:123], -v[90:91]
	v_add_f64 v[128:129], v[124:125], -v[92:93]
	;; [unrolled: 1-line block ×4, first 2 shown]
	v_fma_f64 v[122:123], v[122:123], 2.0, -v[126:127]
	v_fma_f64 v[124:125], v[124:125], 2.0, -v[128:129]
	;; [unrolled: 1-line block ×4, first 2 shown]
	v_add_f64 v[90:91], v[122:123], -v[90:91]
	v_add_f64 v[92:93], v[124:125], -v[92:93]
	v_fma_f64 v[100:101], v[122:123], 2.0, -v[90:91]
	v_fma_f64 v[102:103], v[124:125], 2.0, -v[92:93]
	v_add_f64 v[122:123], v[96:97], v[110:111]
	v_add_f64 v[124:125], v[120:121], -v[108:109]
	v_add_f64 v[118:119], v[112:113], v[118:119]
	v_add_f64 v[116:117], v[114:115], -v[116:117]
	v_fma_f64 v[96:97], v[96:97], 2.0, -v[122:123]
	v_fma_f64 v[106:107], v[120:121], 2.0, -v[124:125]
	;; [unrolled: 1-line block ×4, first 2 shown]
	s_waitcnt lgkmcnt(0)
	; wave barrier
	ds_write_b128 v95, v[100:103]
	v_fma_f64 v[100:101], s[2:3], v[104:105], v[96:97]
	v_fma_f64 v[102:103], s[2:3], v[108:109], v[106:107]
	v_fmac_f64_e32 v[100:101], s[8:9], v[108:109]
	v_fmac_f64_e32 v[102:103], s[2:3], v[104:105]
	v_fma_f64 v[104:105], v[96:97], 2.0, -v[100:101]
	v_fma_f64 v[106:107], v[106:107], 2.0, -v[102:103]
	ds_write_b128 v95, v[104:107] offset:16
	v_add_f64 v[104:105], v[126:127], v[132:133]
	v_add_f64 v[106:107], v[128:129], -v[130:131]
	v_fma_f64 v[108:109], v[126:127], 2.0, -v[104:105]
	v_fma_f64 v[110:111], v[128:129], 2.0, -v[106:107]
	ds_write_b128 v95, v[108:111] offset:32
	v_fma_f64 v[108:109], s[8:9], v[118:119], v[122:123]
	v_fma_f64 v[110:111], s[8:9], v[116:117], v[124:125]
	v_fmac_f64_e32 v[108:109], s[8:9], v[116:117]
	v_fmac_f64_e32 v[110:111], s[2:3], v[118:119]
	v_fma_f64 v[112:113], v[122:123], 2.0, -v[108:109]
	v_fma_f64 v[114:115], v[124:125], 2.0, -v[110:111]
	ds_write_b128 v95, v[112:115] offset:48
	ds_write_b128 v95, v[90:93] offset:64
	;; [unrolled: 1-line block ×5, first 2 shown]
	s_waitcnt lgkmcnt(0)
	; wave barrier
	s_waitcnt lgkmcnt(0)
	ds_read_b128 v[90:93], v1 offset:1024
	ds_read_b128 v[100:103], v1
	ds_read_b128 v[104:107], v1 offset:2048
	s_waitcnt lgkmcnt(2)
	v_mul_f64 v[96:97], v[48:49], v[92:93]
	v_mul_f64 v[48:49], v[48:49], v[90:91]
	v_fmac_f64_e32 v[96:97], v[46:47], v[90:91]
	v_fma_f64 v[90:91], v[46:47], v[92:93], -v[48:49]
	ds_read_b128 v[46:49], v1 offset:3072
	s_waitcnt lgkmcnt(1)
	v_mul_f64 v[92:93], v[44:45], v[106:107]
	v_mul_f64 v[44:45], v[44:45], v[104:105]
	v_fmac_f64_e32 v[92:93], v[42:43], v[104:105]
	v_fma_f64 v[104:105], v[42:43], v[106:107], -v[44:45]
	s_waitcnt lgkmcnt(0)
	v_mul_f64 v[106:107], v[40:41], v[48:49]
	ds_read_b128 v[42:45], v1 offset:4096
	v_mul_f64 v[40:41], v[40:41], v[46:47]
	v_fmac_f64_e32 v[106:107], v[38:39], v[46:47]
	v_fma_f64 v[46:47], v[38:39], v[48:49], -v[40:41]
	ds_read_b128 v[38:41], v1 offset:5120
	s_waitcnt lgkmcnt(1)
	v_mul_f64 v[48:49], v[36:37], v[44:45]
	v_mul_f64 v[36:37], v[36:37], v[42:43]
	v_fmac_f64_e32 v[48:49], v[34:35], v[42:43]
	v_fma_f64 v[42:43], v[34:35], v[44:45], -v[36:37]
	s_waitcnt lgkmcnt(0)
	v_mul_f64 v[44:45], v[52:53], v[40:41]
	ds_read_b128 v[34:37], v1 offset:6144
	v_fmac_f64_e32 v[44:45], v[50:51], v[38:39]
	v_mul_f64 v[38:39], v[52:53], v[38:39]
	v_fma_f64 v[50:51], v[50:51], v[40:41], -v[38:39]
	ds_read_b128 v[38:41], v1 offset:7168
	s_waitcnt lgkmcnt(1)
	v_mul_f64 v[52:53], v[56:57], v[36:37]
	v_fmac_f64_e32 v[52:53], v[54:55], v[34:35]
	v_mul_f64 v[34:35], v[56:57], v[34:35]
	v_fma_f64 v[34:35], v[54:55], v[36:37], -v[34:35]
	s_waitcnt lgkmcnt(0)
	v_mul_f64 v[36:37], v[60:61], v[40:41]
	v_fmac_f64_e32 v[36:37], v[58:59], v[38:39]
	v_mul_f64 v[38:39], v[60:61], v[38:39]
	v_fma_f64 v[38:39], v[58:59], v[40:41], -v[38:39]
	v_add_f64 v[52:53], v[92:93], -v[52:53]
	v_add_f64 v[44:45], v[96:97], -v[44:45]
	;; [unrolled: 1-line block ×5, first 2 shown]
	v_fma_f64 v[56:57], v[92:93], 2.0, -v[52:53]
	v_add_f64 v[50:51], v[90:91], -v[50:51]
	v_fma_f64 v[60:61], v[96:97], 2.0, -v[44:45]
	v_add_f64 v[92:93], v[106:107], -v[36:37]
	v_add_f64 v[96:97], v[46:47], -v[38:39]
	v_fma_f64 v[40:41], v[100:101], 2.0, -v[48:49]
	v_fma_f64 v[42:43], v[102:103], 2.0, -v[54:55]
	;; [unrolled: 1-line block ×6, first 2 shown]
	v_add_f64 v[56:57], v[40:41], -v[56:57]
	v_add_f64 v[58:59], v[42:43], -v[58:59]
	;; [unrolled: 1-line block ×4, first 2 shown]
	v_fma_f64 v[40:41], v[40:41], 2.0, -v[56:57]
	v_fma_f64 v[42:43], v[42:43], 2.0, -v[58:59]
	;; [unrolled: 1-line block ×4, first 2 shown]
	v_add_f64 v[36:37], v[40:41], -v[36:37]
	v_add_f64 v[38:39], v[42:43], -v[38:39]
	v_add_f64 v[34:35], v[48:49], v[34:35]
	v_add_f64 v[60:61], v[54:55], -v[52:53]
	v_add_f64 v[90:91], v[44:45], v[96:97]
	v_add_f64 v[92:93], v[50:51], -v[92:93]
	v_fma_f64 v[40:41], v[40:41], 2.0, -v[36:37]
	v_fma_f64 v[42:43], v[42:43], 2.0, -v[38:39]
	;; [unrolled: 1-line block ×6, first 2 shown]
	s_waitcnt lgkmcnt(0)
	; wave barrier
	ds_write_b128 v99, v[40:43]
	v_fma_f64 v[40:41], s[2:3], v[44:45], v[46:47]
	v_fma_f64 v[42:43], s[2:3], v[50:51], v[48:49]
	v_fmac_f64_e32 v[40:41], s[8:9], v[50:51]
	v_fmac_f64_e32 v[42:43], s[2:3], v[44:45]
	v_fma_f64 v[44:45], v[46:47], 2.0, -v[40:41]
	v_fma_f64 v[46:47], v[48:49], 2.0, -v[42:43]
	ds_write_b128 v99, v[44:47] offset:128
	v_add_f64 v[44:45], v[56:57], v[102:103]
	v_add_f64 v[46:47], v[58:59], -v[100:101]
	v_fma_f64 v[52:53], s[8:9], v[90:91], v[34:35]
	v_fma_f64 v[54:55], s[8:9], v[92:93], v[60:61]
	v_fma_f64 v[48:49], v[56:57], 2.0, -v[44:45]
	v_fma_f64 v[50:51], v[58:59], 2.0, -v[46:47]
	v_fmac_f64_e32 v[52:53], s[8:9], v[92:93]
	v_fmac_f64_e32 v[54:55], s[2:3], v[90:91]
	v_fma_f64 v[56:57], v[34:35], 2.0, -v[52:53]
	v_fma_f64 v[58:59], v[60:61], 2.0, -v[54:55]
	ds_write_b128 v99, v[48:51] offset:256
	ds_write_b128 v99, v[56:59] offset:384
	;; [unrolled: 1-line block ×6, first 2 shown]
	s_waitcnt lgkmcnt(0)
	; wave barrier
	s_waitcnt lgkmcnt(0)
	ds_read_b128 v[38:41], v1
	ds_read_b128 v[42:45], v1 offset:1024
	ds_read_b128 v[46:49], v1 offset:2048
	;; [unrolled: 1-line block ×3, first 2 shown]
	v_mov_b32_e32 v34, s0
	v_mov_b32_e32 v35, s1
	v_mad_u64_u32 v[36:37], s[0:1], s6, v94, 0
	s_waitcnt lgkmcnt(2)
	v_mul_f64 v[54:55], v[68:69], v[44:45]
	v_fmac_f64_e32 v[54:55], v[66:67], v[42:43]
	v_mul_f64 v[42:43], v[68:69], v[42:43]
	v_fma_f64 v[56:57], v[66:67], v[44:45], -v[42:43]
	s_waitcnt lgkmcnt(1)
	v_mul_f64 v[58:59], v[64:65], v[48:49]
	v_mul_f64 v[42:43], v[64:65], v[46:47]
	v_fmac_f64_e32 v[58:59], v[62:63], v[46:47]
	v_fma_f64 v[60:61], v[62:63], v[48:49], -v[42:43]
	ds_read_b128 v[42:45], v1 offset:4096
	ds_read_b128 v[46:49], v1 offset:5120
	s_waitcnt lgkmcnt(2)
	v_mul_f64 v[62:63], v[72:73], v[52:53]
	v_fmac_f64_e32 v[62:63], v[70:71], v[50:51]
	v_mul_f64 v[50:51], v[72:73], v[50:51]
	s_waitcnt lgkmcnt(1)
	v_mul_f64 v[66:67], v[76:77], v[44:45]
	v_fmac_f64_e32 v[66:67], v[74:75], v[42:43]
	v_mul_f64 v[42:43], v[76:77], v[42:43]
	v_fma_f64 v[64:65], v[70:71], v[52:53], -v[50:51]
	v_fma_f64 v[68:69], v[74:75], v[44:45], -v[42:43]
	ds_read_b128 v[42:45], v1 offset:6144
	ds_read_b128 v[50:53], v1 offset:7168
	s_waitcnt lgkmcnt(2)
	v_mul_f64 v[70:71], v[80:81], v[48:49]
	v_fmac_f64_e32 v[70:71], v[78:79], v[46:47]
	v_mul_f64 v[46:47], v[80:81], v[46:47]
	v_fma_f64 v[46:47], v[78:79], v[48:49], -v[46:47]
	s_waitcnt lgkmcnt(1)
	v_mul_f64 v[48:49], v[84:85], v[44:45]
	v_fmac_f64_e32 v[48:49], v[82:83], v[42:43]
	v_mul_f64 v[42:43], v[84:85], v[42:43]
	v_fma_f64 v[42:43], v[82:83], v[44:45], -v[42:43]
	;; [unrolled: 5-line block ×3, first 2 shown]
	v_add_f64 v[52:53], v[38:39], -v[66:67]
	v_add_f64 v[66:67], v[40:41], -v[68:69]
	;; [unrolled: 1-line block ×8, first 2 shown]
	v_fma_f64 v[38:39], v[38:39], 2.0, -v[52:53]
	v_fma_f64 v[40:41], v[40:41], 2.0, -v[66:67]
	;; [unrolled: 1-line block ×8, first 2 shown]
	v_add_f64 v[74:75], v[52:53], v[42:43]
	v_add_f64 v[78:79], v[68:69], v[50:51]
	v_add_f64 v[58:59], v[38:39], -v[58:59]
	v_add_f64 v[60:61], v[40:41], -v[60:61]
	;; [unrolled: 1-line block ×3, first 2 shown]
	v_fma_f64 v[52:53], v[52:53], 2.0, -v[74:75]
	v_add_f64 v[62:63], v[54:55], -v[62:63]
	v_add_f64 v[64:65], v[56:57], -v[64:65]
	;; [unrolled: 1-line block ×3, first 2 shown]
	v_fma_f64 v[50:51], v[68:69], 2.0, -v[78:79]
	v_fma_f64 v[70:71], v[38:39], 2.0, -v[58:59]
	;; [unrolled: 1-line block ×7, first 2 shown]
	v_fma_f64 v[46:47], s[2:3], v[50:51], v[52:53]
	v_add_f64 v[38:39], v[70:71], -v[38:39]
	v_add_f64 v[40:41], v[72:73], -v[40:41]
	v_fma_f64 v[48:49], s[2:3], v[54:55], v[66:67]
	v_fmac_f64_e32 v[46:47], s[8:9], v[54:55]
	v_add_f64 v[54:55], v[58:59], v[64:65]
	v_add_f64 v[56:57], v[60:61], -v[62:63]
	v_fma_f64 v[62:63], s[8:9], v[78:79], v[74:75]
	v_fma_f64 v[64:65], s[8:9], v[80:81], v[76:77]
	v_fma_f64 v[42:43], v[70:71], 2.0, -v[38:39]
	v_fma_f64 v[44:45], v[72:73], 2.0, -v[40:41]
	v_fmac_f64_e32 v[48:49], s[2:3], v[50:51]
	v_fmac_f64_e32 v[62:63], s[8:9], v[80:81]
	;; [unrolled: 1-line block ×3, first 2 shown]
	v_fma_f64 v[50:51], v[52:53], 2.0, -v[46:47]
	v_fma_f64 v[52:53], v[66:67], 2.0, -v[48:49]
	;; [unrolled: 1-line block ×6, first 2 shown]
	ds_write_b128 v1, v[42:45]
	ds_write_b128 v1, v[50:53] offset:1024
	ds_write_b128 v1, v[58:61] offset:2048
	;; [unrolled: 1-line block ×7, first 2 shown]
	s_waitcnt lgkmcnt(0)
	; wave barrier
	s_waitcnt lgkmcnt(0)
	ds_read_b128 v[38:41], v1
	v_mov_b32_e32 v90, v37
	v_mad_u64_u32 v[42:43], s[0:1], s7, v94, v[90:91]
	v_mov_b32_e32 v37, v42
	ds_read_b128 v[42:45], v1 offset:1024
	s_waitcnt lgkmcnt(1)
	v_mul_f64 v[46:47], v[8:9], v[40:41]
	v_mul_f64 v[8:9], v[8:9], v[38:39]
	v_fmac_f64_e32 v[46:47], v[6:7], v[38:39]
	v_fma_f64 v[6:7], v[6:7], v[40:41], -v[8:9]
	v_ldexp_f64 v[48:49], v[6:7], -9
	v_mad_u64_u32 v[6:7], s[0:1], s4, v0, 0
	v_mov_b32_e32 v8, v7
	v_mad_u64_u32 v[8:9], s[0:1], s5, v0, v[8:9]
	v_mov_b32_e32 v7, v8
	v_lshl_add_u64 v[8:9], v[36:37], 4, v[34:35]
	v_lshl_add_u64 v[34:35], v[6:7], 4, v[8:9]
	s_waitcnt lgkmcnt(0)
	v_mul_f64 v[6:7], v[20:21], v[44:45]
	v_mul_f64 v[8:9], v[20:21], v[42:43]
	v_fmac_f64_e32 v[6:7], v[18:19], v[42:43]
	v_fma_f64 v[8:9], v[18:19], v[44:45], -v[8:9]
	ds_read_b128 v[18:21], v1 offset:2048
	s_lshl_b64 s[0:1], s[4:5], 10
	v_ldexp_f64 v[46:47], v[46:47], -9
	v_ldexp_f64 v[6:7], v[6:7], -9
	v_ldexp_f64 v[8:9], v[8:9], -9
	v_lshl_add_u64 v[38:39], v[34:35], 0, s[0:1]
	global_store_dwordx4 v[34:35], v[46:49], off
	global_store_dwordx4 v[38:39], v[6:9], off
	ds_read_b128 v[6:9], v1 offset:3072
	s_waitcnt lgkmcnt(1)
	v_mul_f64 v[34:35], v[4:5], v[20:21]
	v_mul_f64 v[4:5], v[4:5], v[18:19]
	v_fmac_f64_e32 v[34:35], v[2:3], v[18:19]
	v_fma_f64 v[2:3], v[2:3], v[20:21], -v[4:5]
	v_ldexp_f64 v[36:37], v[2:3], -9
	s_waitcnt lgkmcnt(0)
	v_mul_f64 v[2:3], v[28:29], v[8:9]
	v_mul_f64 v[4:5], v[28:29], v[6:7]
	v_fmac_f64_e32 v[2:3], v[26:27], v[6:7]
	v_fma_f64 v[4:5], v[26:27], v[8:9], -v[4:5]
	ds_read_b128 v[6:9], v1 offset:4096
	v_lshl_add_u64 v[18:19], v[38:39], 0, s[0:1]
	v_ldexp_f64 v[34:35], v[34:35], -9
	v_ldexp_f64 v[2:3], v[2:3], -9
	;; [unrolled: 1-line block ×3, first 2 shown]
	v_lshl_add_u64 v[26:27], v[18:19], 0, s[0:1]
	global_store_dwordx4 v[18:19], v[34:37], off
	global_store_dwordx4 v[26:27], v[2:5], off
	ds_read_b128 v[2:5], v1 offset:5120
	s_waitcnt lgkmcnt(1)
	v_mul_f64 v[18:19], v[12:13], v[8:9]
	v_fmac_f64_e32 v[18:19], v[10:11], v[6:7]
	v_mul_f64 v[6:7], v[12:13], v[6:7]
	v_fma_f64 v[6:7], v[10:11], v[8:9], -v[6:7]
	v_ldexp_f64 v[20:21], v[6:7], -9
	s_waitcnt lgkmcnt(0)
	v_mul_f64 v[6:7], v[24:25], v[4:5]
	v_fmac_f64_e32 v[6:7], v[22:23], v[2:3]
	v_mul_f64 v[2:3], v[24:25], v[2:3]
	v_fma_f64 v[8:9], v[22:23], v[4:5], -v[2:3]
	ds_read_b128 v[2:5], v1 offset:6144
	v_ldexp_f64 v[18:19], v[18:19], -9
	v_lshl_add_u64 v[10:11], v[26:27], 0, s[0:1]
	global_store_dwordx4 v[10:11], v[18:21], off
	v_ldexp_f64 v[6:7], v[6:7], -9
	v_ldexp_f64 v[8:9], v[8:9], -9
	v_lshl_add_u64 v[10:11], v[10:11], 0, s[0:1]
	global_store_dwordx4 v[10:11], v[6:9], off
	ds_read_b128 v[6:9], v1 offset:7168
	s_waitcnt lgkmcnt(1)
	v_mul_f64 v[0:1], v[16:17], v[4:5]
	v_fmac_f64_e32 v[0:1], v[14:15], v[2:3]
	v_mul_f64 v[2:3], v[16:17], v[2:3]
	v_fma_f64 v[2:3], v[14:15], v[4:5], -v[2:3]
	v_ldexp_f64 v[0:1], v[0:1], -9
	v_ldexp_f64 v[2:3], v[2:3], -9
	v_lshl_add_u64 v[4:5], v[10:11], 0, s[0:1]
	global_store_dwordx4 v[4:5], v[0:3], off
	v_lshl_add_u64 v[4:5], v[4:5], 0, s[0:1]
	s_waitcnt lgkmcnt(0)
	v_mul_f64 v[0:1], v[32:33], v[8:9]
	v_mul_f64 v[2:3], v[32:33], v[6:7]
	v_fmac_f64_e32 v[0:1], v[30:31], v[6:7]
	v_fma_f64 v[2:3], v[30:31], v[8:9], -v[2:3]
	v_ldexp_f64 v[0:1], v[0:1], -9
	v_ldexp_f64 v[2:3], v[2:3], -9
	global_store_dwordx4 v[4:5], v[0:3], off
.LBB0_2:
	s_endpgm
	.section	.rodata,"a",@progbits
	.p2align	6, 0x0
	.amdhsa_kernel bluestein_single_fwd_len512_dim1_dp_op_CI_CI
		.amdhsa_group_segment_fixed_size 8192
		.amdhsa_private_segment_fixed_size 0
		.amdhsa_kernarg_size 104
		.amdhsa_user_sgpr_count 2
		.amdhsa_user_sgpr_dispatch_ptr 0
		.amdhsa_user_sgpr_queue_ptr 0
		.amdhsa_user_sgpr_kernarg_segment_ptr 1
		.amdhsa_user_sgpr_dispatch_id 0
		.amdhsa_user_sgpr_kernarg_preload_length 0
		.amdhsa_user_sgpr_kernarg_preload_offset 0
		.amdhsa_user_sgpr_private_segment_size 0
		.amdhsa_uses_dynamic_stack 0
		.amdhsa_enable_private_segment 0
		.amdhsa_system_sgpr_workgroup_id_x 1
		.amdhsa_system_sgpr_workgroup_id_y 0
		.amdhsa_system_sgpr_workgroup_id_z 0
		.amdhsa_system_sgpr_workgroup_info 0
		.amdhsa_system_vgpr_workitem_id 0
		.amdhsa_next_free_vgpr 142
		.amdhsa_next_free_sgpr 20
		.amdhsa_accum_offset 144
		.amdhsa_reserve_vcc 1
		.amdhsa_float_round_mode_32 0
		.amdhsa_float_round_mode_16_64 0
		.amdhsa_float_denorm_mode_32 3
		.amdhsa_float_denorm_mode_16_64 3
		.amdhsa_dx10_clamp 1
		.amdhsa_ieee_mode 1
		.amdhsa_fp16_overflow 0
		.amdhsa_tg_split 0
		.amdhsa_exception_fp_ieee_invalid_op 0
		.amdhsa_exception_fp_denorm_src 0
		.amdhsa_exception_fp_ieee_div_zero 0
		.amdhsa_exception_fp_ieee_overflow 0
		.amdhsa_exception_fp_ieee_underflow 0
		.amdhsa_exception_fp_ieee_inexact 0
		.amdhsa_exception_int_div_zero 0
	.end_amdhsa_kernel
	.text
.Lfunc_end0:
	.size	bluestein_single_fwd_len512_dim1_dp_op_CI_CI, .Lfunc_end0-bluestein_single_fwd_len512_dim1_dp_op_CI_CI
                                        ; -- End function
	.section	.AMDGPU.csdata,"",@progbits
; Kernel info:
; codeLenInByte = 6176
; NumSgprs: 26
; NumVgprs: 142
; NumAgprs: 0
; TotalNumVgprs: 142
; ScratchSize: 0
; MemoryBound: 0
; FloatMode: 240
; IeeeMode: 1
; LDSByteSize: 8192 bytes/workgroup (compile time only)
; SGPRBlocks: 3
; VGPRBlocks: 17
; NumSGPRsForWavesPerEU: 26
; NumVGPRsForWavesPerEU: 142
; AccumOffset: 144
; Occupancy: 3
; WaveLimiterHint : 1
; COMPUTE_PGM_RSRC2:SCRATCH_EN: 0
; COMPUTE_PGM_RSRC2:USER_SGPR: 2
; COMPUTE_PGM_RSRC2:TRAP_HANDLER: 0
; COMPUTE_PGM_RSRC2:TGID_X_EN: 1
; COMPUTE_PGM_RSRC2:TGID_Y_EN: 0
; COMPUTE_PGM_RSRC2:TGID_Z_EN: 0
; COMPUTE_PGM_RSRC2:TIDIG_COMP_CNT: 0
; COMPUTE_PGM_RSRC3_GFX90A:ACCUM_OFFSET: 35
; COMPUTE_PGM_RSRC3_GFX90A:TG_SPLIT: 0
	.text
	.p2alignl 6, 3212836864
	.fill 256, 4, 3212836864
	.type	__hip_cuid_c7bfdaf5055ccdcd,@object ; @__hip_cuid_c7bfdaf5055ccdcd
	.section	.bss,"aw",@nobits
	.globl	__hip_cuid_c7bfdaf5055ccdcd
__hip_cuid_c7bfdaf5055ccdcd:
	.byte	0                               ; 0x0
	.size	__hip_cuid_c7bfdaf5055ccdcd, 1

	.ident	"AMD clang version 19.0.0git (https://github.com/RadeonOpenCompute/llvm-project roc-6.4.0 25133 c7fe45cf4b819c5991fe208aaa96edf142730f1d)"
	.section	".note.GNU-stack","",@progbits
	.addrsig
	.addrsig_sym __hip_cuid_c7bfdaf5055ccdcd
	.amdgpu_metadata
---
amdhsa.kernels:
  - .agpr_count:     0
    .args:
      - .actual_access:  read_only
        .address_space:  global
        .offset:         0
        .size:           8
        .value_kind:     global_buffer
      - .actual_access:  read_only
        .address_space:  global
        .offset:         8
        .size:           8
        .value_kind:     global_buffer
      - .actual_access:  read_only
        .address_space:  global
        .offset:         16
        .size:           8
        .value_kind:     global_buffer
      - .actual_access:  read_only
        .address_space:  global
        .offset:         24
        .size:           8
        .value_kind:     global_buffer
      - .actual_access:  read_only
        .address_space:  global
        .offset:         32
        .size:           8
        .value_kind:     global_buffer
      - .offset:         40
        .size:           8
        .value_kind:     by_value
      - .address_space:  global
        .offset:         48
        .size:           8
        .value_kind:     global_buffer
      - .address_space:  global
        .offset:         56
        .size:           8
        .value_kind:     global_buffer
      - .address_space:  global
        .offset:         64
        .size:           8
        .value_kind:     global_buffer
      - .address_space:  global
        .offset:         72
        .size:           8
        .value_kind:     global_buffer
      - .offset:         80
        .size:           4
        .value_kind:     by_value
      - .address_space:  global
        .offset:         88
        .size:           8
        .value_kind:     global_buffer
      - .address_space:  global
        .offset:         96
        .size:           8
        .value_kind:     global_buffer
    .group_segment_fixed_size: 8192
    .kernarg_segment_align: 8
    .kernarg_segment_size: 104
    .language:       OpenCL C
    .language_version:
      - 2
      - 0
    .max_flat_workgroup_size: 64
    .name:           bluestein_single_fwd_len512_dim1_dp_op_CI_CI
    .private_segment_fixed_size: 0
    .sgpr_count:     26
    .sgpr_spill_count: 0
    .symbol:         bluestein_single_fwd_len512_dim1_dp_op_CI_CI.kd
    .uniform_work_group_size: 1
    .uses_dynamic_stack: false
    .vgpr_count:     142
    .vgpr_spill_count: 0
    .wavefront_size: 64
amdhsa.target:   amdgcn-amd-amdhsa--gfx950
amdhsa.version:
  - 1
  - 2
...

	.end_amdgpu_metadata
